;; amdgpu-corpus repo=ROCm/rocFFT kind=compiled arch=gfx906 opt=O3
	.text
	.amdgcn_target "amdgcn-amd-amdhsa--gfx906"
	.amdhsa_code_object_version 6
	.protected	fft_rtc_fwd_len224_factors_7_2_2_2_2_2_wgs_64_tpt_16_halfLds_dp_op_CI_CI_unitstride_sbrr_dirReg ; -- Begin function fft_rtc_fwd_len224_factors_7_2_2_2_2_2_wgs_64_tpt_16_halfLds_dp_op_CI_CI_unitstride_sbrr_dirReg
	.globl	fft_rtc_fwd_len224_factors_7_2_2_2_2_2_wgs_64_tpt_16_halfLds_dp_op_CI_CI_unitstride_sbrr_dirReg
	.p2align	8
	.type	fft_rtc_fwd_len224_factors_7_2_2_2_2_2_wgs_64_tpt_16_halfLds_dp_op_CI_CI_unitstride_sbrr_dirReg,@function
fft_rtc_fwd_len224_factors_7_2_2_2_2_2_wgs_64_tpt_16_halfLds_dp_op_CI_CI_unitstride_sbrr_dirReg: ; @fft_rtc_fwd_len224_factors_7_2_2_2_2_2_wgs_64_tpt_16_halfLds_dp_op_CI_CI_unitstride_sbrr_dirReg
; %bb.0:
	s_load_dwordx4 s[8:11], s[4:5], 0x58
	s_load_dwordx4 s[12:15], s[4:5], 0x0
	;; [unrolled: 1-line block ×3, first 2 shown]
	v_lshrrev_b32_e32 v72, 4, v0
	v_mov_b32_e32 v1, 0
	v_mov_b32_e32 v4, 0
	s_waitcnt lgkmcnt(0)
	v_cmp_lt_u64_e64 s[0:1], s[14:15], 2
	v_lshl_or_b32 v6, s6, 2, v72
	v_mov_b32_e32 v7, v1
	s_and_b64 vcc, exec, s[0:1]
	v_mov_b32_e32 v5, 0
	s_cbranch_vccnz .LBB0_8
; %bb.1:
	s_load_dwordx2 s[0:1], s[4:5], 0x10
	s_add_u32 s2, s18, 8
	s_addc_u32 s3, s19, 0
	s_add_u32 s6, s16, 8
	v_mov_b32_e32 v4, 0
	s_addc_u32 s7, s17, 0
	v_mov_b32_e32 v5, 0
	s_waitcnt lgkmcnt(0)
	s_add_u32 s20, s0, 8
	v_mov_b32_e32 v57, v5
	s_addc_u32 s21, s1, 0
	s_mov_b64 s[22:23], 1
	v_mov_b32_e32 v56, v4
.LBB0_2:                                ; =>This Inner Loop Header: Depth=1
	s_load_dwordx2 s[24:25], s[20:21], 0x0
                                        ; implicit-def: $vgpr60_vgpr61
	s_waitcnt lgkmcnt(0)
	v_or_b32_e32 v2, s25, v7
	v_cmp_ne_u64_e32 vcc, 0, v[1:2]
	s_and_saveexec_b64 s[0:1], vcc
	s_xor_b64 s[26:27], exec, s[0:1]
	s_cbranch_execz .LBB0_4
; %bb.3:                                ;   in Loop: Header=BB0_2 Depth=1
	v_cvt_f32_u32_e32 v2, s24
	v_cvt_f32_u32_e32 v3, s25
	s_sub_u32 s0, 0, s24
	s_subb_u32 s1, 0, s25
	v_mac_f32_e32 v2, 0x4f800000, v3
	v_rcp_f32_e32 v2, v2
	v_mul_f32_e32 v2, 0x5f7ffffc, v2
	v_mul_f32_e32 v3, 0x2f800000, v2
	v_trunc_f32_e32 v3, v3
	v_mac_f32_e32 v2, 0xcf800000, v3
	v_cvt_u32_f32_e32 v3, v3
	v_cvt_u32_f32_e32 v2, v2
	v_mul_lo_u32 v8, s0, v3
	v_mul_hi_u32 v9, s0, v2
	v_mul_lo_u32 v11, s1, v2
	v_mul_lo_u32 v10, s0, v2
	v_add_u32_e32 v8, v9, v8
	v_add_u32_e32 v8, v8, v11
	v_mul_hi_u32 v9, v2, v10
	v_mul_lo_u32 v11, v2, v8
	v_mul_hi_u32 v13, v2, v8
	v_mul_hi_u32 v12, v3, v10
	v_mul_lo_u32 v10, v3, v10
	v_mul_hi_u32 v14, v3, v8
	v_add_co_u32_e32 v9, vcc, v9, v11
	v_addc_co_u32_e32 v11, vcc, 0, v13, vcc
	v_mul_lo_u32 v8, v3, v8
	v_add_co_u32_e32 v9, vcc, v9, v10
	v_addc_co_u32_e32 v9, vcc, v11, v12, vcc
	v_addc_co_u32_e32 v10, vcc, 0, v14, vcc
	v_add_co_u32_e32 v8, vcc, v9, v8
	v_addc_co_u32_e32 v9, vcc, 0, v10, vcc
	v_add_co_u32_e32 v2, vcc, v2, v8
	v_addc_co_u32_e32 v3, vcc, v3, v9, vcc
	v_mul_lo_u32 v8, s0, v3
	v_mul_hi_u32 v9, s0, v2
	v_mul_lo_u32 v10, s1, v2
	v_mul_lo_u32 v11, s0, v2
	v_add_u32_e32 v8, v9, v8
	v_add_u32_e32 v8, v8, v10
	v_mul_lo_u32 v12, v2, v8
	v_mul_hi_u32 v13, v2, v11
	v_mul_hi_u32 v14, v2, v8
	v_mul_hi_u32 v10, v3, v11
	v_mul_lo_u32 v11, v3, v11
	v_mul_hi_u32 v9, v3, v8
	v_add_co_u32_e32 v12, vcc, v13, v12
	v_addc_co_u32_e32 v13, vcc, 0, v14, vcc
	v_mul_lo_u32 v8, v3, v8
	v_add_co_u32_e32 v11, vcc, v12, v11
	v_addc_co_u32_e32 v10, vcc, v13, v10, vcc
	v_addc_co_u32_e32 v9, vcc, 0, v9, vcc
	v_add_co_u32_e32 v8, vcc, v10, v8
	v_addc_co_u32_e32 v9, vcc, 0, v9, vcc
	v_add_co_u32_e32 v8, vcc, v2, v8
	v_addc_co_u32_e32 v9, vcc, v3, v9, vcc
	v_mad_u64_u32 v[2:3], s[0:1], v6, v9, 0
	v_mul_hi_u32 v10, v6, v8
	v_add_co_u32_e32 v10, vcc, v10, v2
	v_addc_co_u32_e32 v11, vcc, 0, v3, vcc
	v_mad_u64_u32 v[2:3], s[0:1], v7, v8, 0
	v_mad_u64_u32 v[8:9], s[0:1], v7, v9, 0
	v_add_co_u32_e32 v2, vcc, v10, v2
	v_addc_co_u32_e32 v2, vcc, v11, v3, vcc
	v_addc_co_u32_e32 v3, vcc, 0, v9, vcc
	v_add_co_u32_e32 v8, vcc, v2, v8
	v_addc_co_u32_e32 v9, vcc, 0, v3, vcc
	v_mul_lo_u32 v10, s25, v8
	v_mul_lo_u32 v11, s24, v9
	v_mad_u64_u32 v[2:3], s[0:1], s24, v8, 0
	v_add3_u32 v3, v3, v11, v10
	v_sub_u32_e32 v10, v7, v3
	v_mov_b32_e32 v11, s25
	v_sub_co_u32_e32 v2, vcc, v6, v2
	v_subb_co_u32_e64 v10, s[0:1], v10, v11, vcc
	v_subrev_co_u32_e64 v11, s[0:1], s24, v2
	v_subbrev_co_u32_e64 v10, s[0:1], 0, v10, s[0:1]
	v_cmp_le_u32_e64 s[0:1], s25, v10
	v_cndmask_b32_e64 v12, 0, -1, s[0:1]
	v_cmp_le_u32_e64 s[0:1], s24, v11
	v_cndmask_b32_e64 v11, 0, -1, s[0:1]
	v_cmp_eq_u32_e64 s[0:1], s25, v10
	v_cndmask_b32_e64 v10, v12, v11, s[0:1]
	v_add_co_u32_e64 v11, s[0:1], 2, v8
	v_addc_co_u32_e64 v12, s[0:1], 0, v9, s[0:1]
	v_add_co_u32_e64 v13, s[0:1], 1, v8
	v_addc_co_u32_e64 v14, s[0:1], 0, v9, s[0:1]
	v_subb_co_u32_e32 v3, vcc, v7, v3, vcc
	v_cmp_ne_u32_e64 s[0:1], 0, v10
	v_cmp_le_u32_e32 vcc, s25, v3
	v_cndmask_b32_e64 v10, v14, v12, s[0:1]
	v_cndmask_b32_e64 v12, 0, -1, vcc
	v_cmp_le_u32_e32 vcc, s24, v2
	v_cndmask_b32_e64 v2, 0, -1, vcc
	v_cmp_eq_u32_e32 vcc, s25, v3
	v_cndmask_b32_e32 v2, v12, v2, vcc
	v_cmp_ne_u32_e32 vcc, 0, v2
	v_cndmask_b32_e64 v2, v13, v11, s[0:1]
	v_cndmask_b32_e32 v61, v9, v10, vcc
	v_cndmask_b32_e32 v60, v8, v2, vcc
.LBB0_4:                                ;   in Loop: Header=BB0_2 Depth=1
	s_andn2_saveexec_b64 s[0:1], s[26:27]
	s_cbranch_execz .LBB0_6
; %bb.5:                                ;   in Loop: Header=BB0_2 Depth=1
	v_cvt_f32_u32_e32 v2, s24
	s_sub_i32 s26, 0, s24
	v_mov_b32_e32 v61, v1
	v_rcp_iflag_f32_e32 v2, v2
	v_mul_f32_e32 v2, 0x4f7ffffe, v2
	v_cvt_u32_f32_e32 v2, v2
	v_mul_lo_u32 v3, s26, v2
	v_mul_hi_u32 v3, v2, v3
	v_add_u32_e32 v2, v2, v3
	v_mul_hi_u32 v2, v6, v2
	v_mul_lo_u32 v3, v2, s24
	v_add_u32_e32 v8, 1, v2
	v_sub_u32_e32 v3, v6, v3
	v_subrev_u32_e32 v9, s24, v3
	v_cmp_le_u32_e32 vcc, s24, v3
	v_cndmask_b32_e32 v3, v3, v9, vcc
	v_cndmask_b32_e32 v2, v2, v8, vcc
	v_add_u32_e32 v8, 1, v2
	v_cmp_le_u32_e32 vcc, s24, v3
	v_cndmask_b32_e32 v60, v2, v8, vcc
.LBB0_6:                                ;   in Loop: Header=BB0_2 Depth=1
	s_or_b64 exec, exec, s[0:1]
	v_mul_lo_u32 v8, v61, s24
	v_mul_lo_u32 v9, v60, s25
	v_mad_u64_u32 v[2:3], s[0:1], v60, s24, 0
	s_load_dwordx2 s[0:1], s[6:7], 0x0
	s_load_dwordx2 s[24:25], s[2:3], 0x0
	v_add3_u32 v3, v3, v9, v8
	v_sub_co_u32_e32 v2, vcc, v6, v2
	v_subb_co_u32_e32 v3, vcc, v7, v3, vcc
	s_waitcnt lgkmcnt(0)
	v_mul_lo_u32 v6, s0, v3
	v_mul_lo_u32 v7, s1, v2
	v_mad_u64_u32 v[4:5], s[0:1], s0, v2, v[4:5]
	v_mul_lo_u32 v3, s24, v3
	v_mul_lo_u32 v8, s25, v2
	v_mad_u64_u32 v[56:57], s[0:1], s24, v2, v[56:57]
	s_add_u32 s22, s22, 1
	s_addc_u32 s23, s23, 0
	s_add_u32 s2, s2, 8
	v_add3_u32 v57, v8, v57, v3
	s_addc_u32 s3, s3, 0
	v_mov_b32_e32 v2, s14
	s_add_u32 s6, s6, 8
	v_mov_b32_e32 v3, s15
	s_addc_u32 s7, s7, 0
	v_cmp_ge_u64_e32 vcc, s[22:23], v[2:3]
	s_add_u32 s20, s20, 8
	v_add3_u32 v5, v7, v5, v6
	s_addc_u32 s21, s21, 0
	s_cbranch_vccnz .LBB0_9
; %bb.7:                                ;   in Loop: Header=BB0_2 Depth=1
	v_mov_b32_e32 v6, v60
	v_mov_b32_e32 v7, v61
	s_branch .LBB0_2
.LBB0_8:
	v_mov_b32_e32 v57, v5
	v_mov_b32_e32 v61, v7
	;; [unrolled: 1-line block ×4, first 2 shown]
.LBB0_9:
	s_load_dwordx2 s[0:1], s[4:5], 0x28
	s_lshl_b64 s[6:7], s[14:15], 3
	s_add_u32 s2, s18, s6
	s_addc_u32 s3, s19, s7
	v_and_b32_e32 v58, 15, v0
	s_waitcnt lgkmcnt(0)
	v_cmp_gt_u64_e32 vcc, s[0:1], v[60:61]
	v_cmp_le_u64_e64 s[0:1], s[0:1], v[60:61]
                                        ; implicit-def: $vgpr68
                                        ; implicit-def: $vgpr66
                                        ; implicit-def: $vgpr62
                                        ; implicit-def: $vgpr63
                                        ; implicit-def: $vgpr64
                                        ; implicit-def: $vgpr65
	s_and_saveexec_b64 s[4:5], s[0:1]
	s_xor_b64 s[0:1], exec, s[4:5]
; %bb.10:
	v_and_b32_e32 v58, 15, v0
	v_mov_b32_e32 v59, 0
	v_or_b32_e32 v68, 16, v58
	v_or_b32_e32 v66, 32, v58
	;; [unrolled: 1-line block ×6, first 2 shown]
	v_mov_b32_e32 v69, v59
	v_mov_b32_e32 v67, v59
                                        ; implicit-def: $vgpr4_vgpr5
; %bb.11:
	s_or_saveexec_b64 s[4:5], s[0:1]
                                        ; implicit-def: $vgpr30_vgpr31
                                        ; implicit-def: $vgpr26_vgpr27
                                        ; implicit-def: $vgpr14_vgpr15
                                        ; implicit-def: $vgpr10_vgpr11
                                        ; implicit-def: $vgpr22_vgpr23
                                        ; implicit-def: $vgpr18_vgpr19
                                        ; implicit-def: $vgpr2_vgpr3
                                        ; implicit-def: $vgpr54_vgpr55
                                        ; implicit-def: $vgpr50_vgpr51
                                        ; implicit-def: $vgpr46_vgpr47
                                        ; implicit-def: $vgpr42_vgpr43
                                        ; implicit-def: $vgpr38_vgpr39
                                        ; implicit-def: $vgpr34_vgpr35
                                        ; implicit-def: $vgpr6_vgpr7
	s_xor_b64 exec, exec, s[4:5]
	s_cbranch_execz .LBB0_13
; %bb.12:
	s_add_u32 s0, s16, s6
	s_addc_u32 s1, s17, s7
	s_load_dwordx2 s[0:1], s[0:1], 0x0
	v_mov_b32_e32 v8, s9
	v_lshlrev_b64 v[2:3], 4, v[4:5]
	v_mov_b32_e32 v59, 0
	v_or_b32_e32 v66, 32, v58
	s_waitcnt lgkmcnt(0)
	v_mul_lo_u32 v6, s1, v60
	v_mul_lo_u32 v7, s0, v61
	v_mad_u64_u32 v[0:1], s[0:1], s0, v60, 0
	v_mov_b32_e32 v67, v59
	v_or_b32_e32 v68, 16, v58
	v_add3_u32 v1, v1, v7, v6
	v_lshlrev_b64 v[0:1], 4, v[0:1]
	v_mov_b32_e32 v69, v59
	v_add_co_u32_e64 v0, s[0:1], s8, v0
	v_addc_co_u32_e64 v1, s[0:1], v8, v1, s[0:1]
	v_add_co_u32_e64 v0, s[0:1], v0, v2
	v_addc_co_u32_e64 v1, s[0:1], v1, v3, s[0:1]
	v_lshlrev_b32_e32 v2, 4, v58
	v_add_co_u32_e64 v62, s[0:1], v0, v2
	v_addc_co_u32_e64 v63, s[0:1], 0, v1, s[0:1]
	global_load_dwordx4 v[4:7], v[62:63], off
	global_load_dwordx4 v[0:3], v[62:63], off offset:256
	global_load_dwordx4 v[32:35], v[62:63], off offset:512
	;; [unrolled: 1-line block ×13, first 2 shown]
	v_or_b32_e32 v63, 64, v58
	v_or_b32_e32 v65, 0x60, v58
	;; [unrolled: 1-line block ×4, first 2 shown]
.LBB0_13:
	s_or_b64 exec, exec, s[4:5]
	s_waitcnt vmcnt(1)
	v_add_f64 v[73:74], v[52:53], v[32:33]
	v_add_f64 v[70:71], v[54:55], v[34:35]
	v_add_f64 v[32:33], v[32:33], -v[52:53]
	v_add_f64 v[52:53], v[34:35], -v[54:55]
	v_add_f64 v[54:55], v[48:49], v[36:37]
	v_add_f64 v[34:35], v[50:51], v[38:39]
	v_add_f64 v[36:37], v[36:37], -v[48:49]
	v_add_f64 v[38:39], v[38:39], -v[50:51]
	;; [unrolled: 4-line block ×3, first 2 shown]
	v_add_f64 v[44:45], v[54:55], v[73:74]
	s_waitcnt vmcnt(0)
	v_add_f64 v[46:47], v[28:29], v[16:17]
	v_add_f64 v[75:76], v[30:31], v[18:19]
	v_add_f64 v[77:78], v[16:17], -v[28:29]
	v_add_f64 v[16:17], v[18:19], -v[30:31]
	v_add_f64 v[18:19], v[24:25], v[20:21]
	v_add_f64 v[79:80], v[26:27], v[22:23]
	v_add_f64 v[81:82], v[20:21], -v[24:25]
	v_add_f64 v[20:21], v[22:23], -v[26:27]
	v_add_f64 v[22:23], v[12:13], v[8:9]
	v_add_f64 v[85:86], v[12:13], -v[8:9]
	v_add_f64 v[12:13], v[48:49], v[44:45]
	v_add_f64 v[26:27], v[73:74], -v[48:49]
	v_add_f64 v[28:29], v[48:49], -v[54:55]
	;; [unrolled: 1-line block ×3, first 2 shown]
	s_mov_b32 s16, 0x37e14327
	s_mov_b32 s4, 0x36b3c0b5
	;; [unrolled: 1-line block ×6, first 2 shown]
	v_add_f64 v[8:9], v[42:43], v[38:39]
	v_add_f64 v[24:25], v[54:55], -v[73:74]
	v_add_f64 v[42:43], v[52:53], -v[42:43]
	;; [unrolled: 1-line block ×3, first 2 shown]
	v_add_f64 v[4:5], v[4:5], v[12:13]
	v_mul_f64 v[26:27], v[26:27], s[16:17]
	v_mul_f64 v[44:45], v[28:29], s[4:5]
	;; [unrolled: 1-line block ×3, first 2 shown]
	s_mov_b32 s0, 0x429ad128
	s_mov_b32 s6, 0x5476071b
	;; [unrolled: 1-line block ×10, first 2 shown]
	v_add_f64 v[8:9], v[8:9], v[52:53]
	v_fma_f64 v[28:29], v[28:29], s[4:5], v[26:27]
	v_fma_f64 v[44:45], v[24:25], s[6:7], -v[44:45]
	v_fma_f64 v[24:25], v[24:25], s[8:9], -v[26:27]
	v_fma_f64 v[12:13], v[12:13], s[20:21], v[4:5]
	v_fma_f64 v[26:27], v[42:43], s[18:19], v[30:31]
	v_mul_f64 v[48:49], v[38:39], s[0:1]
	s_mov_b32 s24, 0x37c3f68c
	s_mov_b32 s23, 0xbfd5d0dc
	;; [unrolled: 1-line block ×4, first 2 shown]
	v_add_f64 v[52:53], v[34:35], v[70:71]
	v_add_f64 v[28:29], v[28:29], v[12:13]
	v_fma_f64 v[54:55], v[8:9], s[24:25], v[26:27]
	v_fma_f64 v[26:27], v[42:43], s[22:23], -v[48:49]
	v_fma_f64 v[30:31], v[38:39], s[0:1], -v[30:31]
	v_add_f64 v[83:84], v[14:15], v[10:11]
	v_add_f64 v[10:11], v[14:15], -v[10:11]
	v_add_f64 v[38:39], v[44:45], v[12:13]
	v_add_f64 v[14:15], v[50:51], v[52:53]
	;; [unrolled: 1-line block ×4, first 2 shown]
	v_fma_f64 v[42:43], v[8:9], s[24:25], v[26:27]
	v_fma_f64 v[8:9], v[8:9], s[24:25], v[30:31]
	v_add_f64 v[30:31], v[18:19], v[46:47]
	v_mul_u32_u24_e32 v52, 0xe0, v72
	v_lshlrev_b32_e32 v26, 3, v52
	v_add_u32_e32 v27, 0, v26
	v_mad_u32_u24 v97, v58, 56, v27
	v_add_f64 v[48:49], v[6:7], v[14:15]
	ds_write2_b64 v97, v[4:5], v[24:25] offset1:1
	v_add_f64 v[6:7], v[46:47], -v[22:23]
	v_add_f64 v[24:25], v[22:23], v[30:31]
	v_add_f64 v[22:23], v[22:23], -v[18:19]
	v_add_f64 v[4:5], v[42:43], v[12:13]
	;; [unrolled: 2-line block ×3, first 2 shown]
	v_add_f64 v[38:39], v[10:11], -v[20:21]
	v_add_f64 v[18:19], v[18:19], -v[46:47]
	;; [unrolled: 1-line block ×3, first 2 shown]
	v_mul_f64 v[6:7], v[6:7], s[16:17]
	v_add_f64 v[0:1], v[0:1], v[24:25]
	v_mul_f64 v[46:47], v[22:23], s[4:5]
	v_add_f64 v[20:21], v[10:11], v[20:21]
	ds_write2_b64 v97, v[4:5], v[30:31] offset0:2 offset1:3
	v_mul_f64 v[4:5], v[38:39], s[14:15]
	v_add_f64 v[10:11], v[16:17], -v[10:11]
	v_mul_f64 v[30:31], v[44:45], s[0:1]
	v_fma_f64 v[22:23], v[22:23], s[4:5], v[6:7]
	v_fma_f64 v[24:25], v[24:25], s[20:21], v[0:1]
	v_fma_f64 v[38:39], v[18:19], s[6:7], -v[46:47]
	v_add_f64 v[16:17], v[20:21], v[16:17]
	v_fma_f64 v[6:7], v[18:19], s[8:9], -v[6:7]
	v_add_f64 v[20:21], v[70:71], -v[50:51]
	v_fma_f64 v[18:19], v[44:45], s[0:1], -v[4:5]
	v_fma_f64 v[4:5], v[10:11], s[18:19], v[4:5]
	v_fma_f64 v[10:11], v[10:11], s[22:23], -v[30:31]
	v_add_f64 v[22:23], v[22:23], v[24:25]
	v_add_f64 v[30:31], v[38:39], v[24:25]
	v_add_f64 v[38:39], v[40:41], -v[36:37]
	v_add_f64 v[6:7], v[6:7], v[24:25]
	v_add_f64 v[24:25], v[40:41], v[36:37]
	v_add_f64 v[46:47], v[50:51], -v[34:35]
	v_mul_f64 v[50:51], v[20:21], s[16:17]
	v_add_f64 v[36:37], v[36:37], -v[32:33]
	v_add_f64 v[52:53], v[32:33], -v[40:41]
	v_fma_f64 v[89:90], v[14:15], s[20:21], v[48:49]
	v_mul_f64 v[72:73], v[38:39], s[14:15]
	v_add_f64 v[34:35], v[34:35], -v[70:71]
	v_add_f64 v[93:94], v[79:80], v[75:76]
	v_add_f64 v[87:88], v[24:25], v[32:33]
	v_fma_f64 v[14:15], v[46:47], s[4:5], v[50:51]
	v_mul_f64 v[46:47], v[46:47], s[4:5]
	v_mul_f64 v[70:71], v[36:37], s[0:1]
	v_fma_f64 v[4:5], v[16:17], s[24:25], v[4:5]
	v_fma_f64 v[24:25], v[52:53], s[18:19], v[72:73]
	;; [unrolled: 1-line block ×4, first 2 shown]
	v_add_f64 v[16:17], v[28:29], -v[54:55]
	v_add_f64 v[54:55], v[14:15], v[89:90]
	v_fma_f64 v[46:47], v[34:35], s[6:7], -v[46:47]
	v_fma_f64 v[33:34], v[34:35], s[8:9], -v[50:51]
	;; [unrolled: 1-line block ×4, first 2 shown]
	v_add_f64 v[52:53], v[75:76], -v[83:84]
	v_add_f64 v[70:71], v[83:84], v[93:94]
	v_add_f64 v[72:73], v[83:84], -v[79:80]
	v_add_f64 v[83:84], v[85:86], -v[81:82]
	;; [unrolled: 1-line block ×4, first 2 shown]
	v_add_f64 v[46:47], v[46:47], v[89:90]
	v_add_f64 v[33:34], v[33:34], v[89:90]
	v_add_f64 v[81:82], v[85:86], v[81:82]
	v_mul_f64 v[52:53], v[52:53], s[16:17]
	v_add_f64 v[2:3], v[2:3], v[70:71]
	v_mul_f64 v[89:90], v[72:73], s[4:5]
	v_mul_f64 v[83:84], v[83:84], s[14:15]
	v_add_f64 v[85:86], v[77:78], -v[85:86]
	v_mul_f64 v[93:94], v[79:80], s[0:1]
	v_fma_f64 v[91:92], v[87:88], s[24:25], v[24:25]
	v_add_f64 v[76:77], v[81:82], v[77:78]
	v_fma_f64 v[72:73], v[72:73], s[4:5], v[52:53]
	v_fma_f64 v[70:71], v[70:71], s[20:21], v[2:3]
	v_fma_f64 v[81:82], v[74:75], s[6:7], -v[89:90]
	v_fma_f64 v[78:79], v[79:80], s[0:1], -v[83:84]
	;; [unrolled: 1-line block ×3, first 2 shown]
	v_fma_f64 v[74:75], v[85:86], s[18:19], v[83:84]
	v_fma_f64 v[83:84], v[85:86], s[22:23], -v[93:94]
	v_fma_f64 v[35:36], v[87:88], s[24:25], v[35:36]
	v_fma_f64 v[50:51], v[87:88], s[24:25], v[50:51]
	v_add_f64 v[72:73], v[72:73], v[70:71]
	v_add_f64 v[80:81], v[81:82], v[70:71]
	v_fma_f64 v[78:79], v[76:77], s[24:25], v[78:79]
	v_add_f64 v[52:53], v[52:53], v[70:71]
	v_fma_f64 v[70:71], v[76:77], s[24:25], v[74:75]
	v_fma_f64 v[74:75], v[76:77], s[24:25], v[83:84]
	v_add_f64 v[12:13], v[12:13], -v[42:43]
	v_add_f64 v[28:29], v[10:11], v[6:7]
	v_add_f64 v[6:7], v[6:7], -v[10:11]
	v_add_f64 v[10:11], v[4:5], v[22:23]
	;; [unrolled: 2-line block ×3, first 2 shown]
	v_add_f64 v[95:96], v[54:55], -v[91:92]
	v_add_f64 v[4:5], v[22:23], -v[4:5]
	v_add_f64 v[85:86], v[35:36], v[46:47]
	v_add_f64 v[35:36], v[46:47], -v[35:36]
	v_add_f64 v[46:47], v[33:34], -v[50:51]
	v_add_f64 v[33:34], v[50:51], v[33:34]
	v_add_f64 v[50:51], v[91:92], v[54:55]
	;; [unrolled: 1-line block ×3, first 2 shown]
	v_add_f64 v[76:77], v[80:81], -v[78:79]
	v_add_f64 v[78:79], v[72:73], -v[70:71]
	v_mad_i32_i24 v98, v68, 56, v27
	v_add_f64 v[80:81], v[52:53], -v[74:75]
	s_load_dwordx2 s[2:3], s[2:3], 0x0
	ds_write2_b64 v97, v[8:9], v[12:13] offset0:4 offset1:5
	ds_write_b64 v97, v[16:17] offset:48
	ds_write2_b64 v98, v[0:1], v[10:11] offset1:1
	ds_write2_b64 v98, v[28:29], v[20:21] offset0:2 offset1:3
	ds_write2_b64 v98, v[18:19], v[6:7] offset0:4 offset1:5
	ds_write_b64 v98, v[4:5] offset:48
	v_lshlrev_b32_e32 v28, 3, v58
	v_add_f64 v[52:53], v[74:75], v[52:53]
	v_add_u32_e32 v38, v27, v28
	s_movk_i32 s26, 0xffd0
	v_lshl_add_u32 v41, v66, 3, v27
	v_lshl_add_u32 v42, v62, 3, v27
	v_add_f64 v[70:71], v[70:71], v[72:73]
	s_waitcnt lgkmcnt(0)
	; wave barrier
	s_waitcnt lgkmcnt(0)
	ds_read_b64 v[18:19], v38
	v_mad_i32_i24 v39, v58, s26, v97
	v_mad_i32_i24 v40, v68, s26, v98
	v_lshl_add_u32 v43, v63, 3, v27
	v_lshl_add_u32 v44, v64, 3, v27
	;; [unrolled: 1-line block ×3, first 2 shown]
	ds_read_b64 v[16:17], v42
	ds_read_b64 v[14:15], v43
	;; [unrolled: 1-line block ×6, first 2 shown]
	ds_read_b64 v[24:25], v39 offset:1664
	ds_read2_b64 v[29:32], v39 offset0:112 offset1:128
	ds_read2_b64 v[8:11], v39 offset0:144 offset1:160
	;; [unrolled: 1-line block ×3, first 2 shown]
	s_waitcnt lgkmcnt(0)
	; wave barrier
	s_waitcnt lgkmcnt(0)
	ds_write2_b64 v97, v[48:49], v[95:96] offset1:1
	ds_write2_b64 v97, v[46:47], v[85:86] offset0:2 offset1:3
	ds_write2_b64 v97, v[35:36], v[33:34] offset0:4 offset1:5
	ds_write_b64 v97, v[50:51] offset:48
	ds_write2_b64 v98, v[2:3], v[78:79] offset1:1
	ds_write2_b64 v98, v[80:81], v[54:55] offset0:2 offset1:3
	ds_write2_b64 v98, v[76:77], v[52:53] offset0:4 offset1:5
	ds_write_b64 v98, v[70:71] offset:48
	v_mov_b32_e32 v3, 37
	v_mul_lo_u16_sdwa v2, v58, v3 dst_sel:DWORD dst_unused:UNUSED_PAD src0_sel:BYTE_0 src1_sel:DWORD
	v_sub_u16_sdwa v33, v58, v2 dst_sel:DWORD dst_unused:UNUSED_PAD src0_sel:DWORD src1_sel:BYTE_1
	v_lshrrev_b16_e32 v33, 1, v33
	v_and_b32_e32 v33, 0x7f, v33
	v_add_u16_sdwa v2, v33, v2 dst_sel:DWORD dst_unused:UNUSED_PAD src0_sel:DWORD src1_sel:BYTE_1
	v_mul_lo_u16_sdwa v33, v68, v3 dst_sel:DWORD dst_unused:UNUSED_PAD src0_sel:BYTE_0 src1_sel:DWORD
	v_sub_u16_sdwa v34, v68, v33 dst_sel:DWORD dst_unused:UNUSED_PAD src0_sel:DWORD src1_sel:BYTE_1
	v_lshrrev_b16_e32 v34, 1, v34
	v_and_b32_e32 v34, 0x7f, v34
	v_lshrrev_b16_e32 v37, 2, v2
	v_add_u16_sdwa v33, v34, v33 dst_sel:DWORD dst_unused:UNUSED_PAD src0_sel:DWORD src1_sel:BYTE_1
	v_mul_lo_u16_e32 v2, 7, v37
	v_lshrrev_b16_e32 v101, 2, v33
	v_sub_u16_e32 v100, v58, v2
	v_mov_b32_e32 v2, 4
	v_mul_lo_u16_e32 v33, 7, v101
	v_lshlrev_b32_sdwa v50, v2, v100 dst_sel:DWORD dst_unused:UNUSED_PAD src0_sel:DWORD src1_sel:BYTE_0
	v_sub_u16_e32 v102, v68, v33
	s_waitcnt lgkmcnt(0)
	; wave barrier
	s_waitcnt lgkmcnt(0)
	v_lshlrev_b32_sdwa v51, v2, v102 dst_sel:DWORD dst_unused:UNUSED_PAD src0_sel:DWORD src1_sel:BYTE_0
	global_load_dwordx4 v[33:36], v50, s[12:13]
	global_load_dwordx4 v[46:49], v51, s[12:13]
	v_mul_lo_u16_sdwa v50, v66, v3 dst_sel:DWORD dst_unused:UNUSED_PAD src0_sel:BYTE_0 src1_sel:DWORD
	v_sub_u16_sdwa v51, v66, v50 dst_sel:DWORD dst_unused:UNUSED_PAD src0_sel:DWORD src1_sel:BYTE_1
	v_lshrrev_b16_e32 v51, 1, v51
	v_and_b32_e32 v51, 0x7f, v51
	v_add_u16_sdwa v50, v51, v50 dst_sel:DWORD dst_unused:UNUSED_PAD src0_sel:DWORD src1_sel:BYTE_1
	v_lshrrev_b16_e32 v103, 2, v50
	v_mul_lo_u16_e32 v50, 7, v103
	v_sub_u16_e32 v104, v66, v50
	v_mul_lo_u16_sdwa v50, v62, v3 dst_sel:DWORD dst_unused:UNUSED_PAD src0_sel:BYTE_0 src1_sel:DWORD
	v_sub_u16_sdwa v51, v62, v50 dst_sel:DWORD dst_unused:UNUSED_PAD src0_sel:DWORD src1_sel:BYTE_1
	v_lshrrev_b16_e32 v51, 1, v51
	v_and_b32_e32 v51, 0x7f, v51
	v_add_u16_sdwa v50, v51, v50 dst_sel:DWORD dst_unused:UNUSED_PAD src0_sel:DWORD src1_sel:BYTE_1
	v_lshrrev_b16_e32 v105, 2, v50
	v_mul_lo_u16_e32 v50, 7, v105
	v_lshlrev_b32_sdwa v54, v2, v104 dst_sel:DWORD dst_unused:UNUSED_PAD src0_sel:DWORD src1_sel:BYTE_0
	v_sub_u16_e32 v106, v62, v50
	v_lshlrev_b32_sdwa v55, v2, v106 dst_sel:DWORD dst_unused:UNUSED_PAD src0_sel:DWORD src1_sel:BYTE_0
	global_load_dwordx4 v[50:53], v54, s[12:13]
	global_load_dwordx4 v[70:73], v55, s[12:13]
	v_mul_lo_u16_sdwa v54, v63, v3 dst_sel:DWORD dst_unused:UNUSED_PAD src0_sel:BYTE_0 src1_sel:DWORD
	v_sub_u16_sdwa v55, v63, v54 dst_sel:DWORD dst_unused:UNUSED_PAD src0_sel:DWORD src1_sel:BYTE_1
	v_lshrrev_b16_e32 v55, 1, v55
	v_and_b32_e32 v55, 0x7f, v55
	v_add_u16_sdwa v54, v55, v54 dst_sel:DWORD dst_unused:UNUSED_PAD src0_sel:DWORD src1_sel:BYTE_1
	v_mul_lo_u16_sdwa v55, v64, v3 dst_sel:DWORD dst_unused:UNUSED_PAD src0_sel:BYTE_0 src1_sel:DWORD
	v_sub_u16_sdwa v74, v64, v55 dst_sel:DWORD dst_unused:UNUSED_PAD src0_sel:DWORD src1_sel:BYTE_1
	v_lshrrev_b16_e32 v74, 1, v74
	v_and_b32_e32 v74, 0x7f, v74
	v_lshrrev_b16_e32 v107, 2, v54
	v_add_u16_sdwa v55, v74, v55 dst_sel:DWORD dst_unused:UNUSED_PAD src0_sel:DWORD src1_sel:BYTE_1
	v_mul_lo_u16_e32 v54, 7, v107
	v_lshrrev_b16_e32 v109, 2, v55
	v_sub_u16_e32 v108, v63, v54
	v_mul_lo_u16_e32 v55, 7, v109
	v_lshlrev_b32_sdwa v54, v2, v108 dst_sel:DWORD dst_unused:UNUSED_PAD src0_sel:DWORD src1_sel:BYTE_0
	v_sub_u16_e32 v110, v64, v55
	v_mul_lo_u16_sdwa v3, v65, v3 dst_sel:DWORD dst_unused:UNUSED_PAD src0_sel:BYTE_0 src1_sel:DWORD
	v_lshlrev_b32_sdwa v55, v2, v110 dst_sel:DWORD dst_unused:UNUSED_PAD src0_sel:DWORD src1_sel:BYTE_0
	global_load_dwordx4 v[74:77], v54, s[12:13]
	global_load_dwordx4 v[78:81], v55, s[12:13]
	v_sub_u16_sdwa v54, v65, v3 dst_sel:DWORD dst_unused:UNUSED_PAD src0_sel:DWORD src1_sel:BYTE_1
	v_lshrrev_b16_e32 v54, 1, v54
	v_and_b32_e32 v54, 0x7f, v54
	v_add_u16_sdwa v3, v54, v3 dst_sel:DWORD dst_unused:UNUSED_PAD src0_sel:DWORD src1_sel:BYTE_1
	v_lshrrev_b16_e32 v111, 2, v3
	v_mul_lo_u16_e32 v3, 7, v111
	v_sub_u16_e32 v112, v65, v3
	v_lshlrev_b32_sdwa v3, v2, v112 dst_sel:DWORD dst_unused:UNUSED_PAD src0_sel:DWORD src1_sel:BYTE_0
	global_load_dwordx4 v[82:85], v3, s[12:13]
	ds_read2_b64 v[86:89], v39 offset0:112 offset1:128
	ds_read2_b64 v[90:93], v39 offset0:144 offset1:160
	s_movk_i32 s4, 0x70
	v_mov_b32_e32 v3, 3
	v_mad_u32_u24 v37, v37, s4, 0
	v_cmp_gt_u32_e64 s[0:1], 14, v58
	s_movk_i32 s5, 0xe0
	s_waitcnt vmcnt(6) lgkmcnt(1)
	v_mul_f64 v[54:55], v[86:87], v[35:36]
	v_mul_f64 v[35:36], v[29:30], v[35:36]
	s_waitcnt vmcnt(5)
	v_mul_f64 v[94:95], v[88:89], v[48:49]
	v_mul_f64 v[48:49], v[31:32], v[48:49]
	v_fma_f64 v[54:55], v[29:30], v[33:34], -v[54:55]
	v_fma_f64 v[33:34], v[86:87], v[33:34], v[35:36]
	v_fma_f64 v[35:36], v[31:32], v[46:47], -v[94:95]
	ds_read2_b64 v[29:32], v39 offset0:176 offset1:192
	v_fma_f64 v[46:47], v[88:89], v[46:47], v[48:49]
	ds_read_b64 v[88:89], v39 offset:1664
	v_add_f64 v[54:55], v[18:19], -v[54:55]
	v_add_f64 v[35:36], v[22:23], -v[35:36]
	s_waitcnt vmcnt(4) lgkmcnt(2)
	v_mul_f64 v[96:97], v[90:91], v[52:53]
	v_mul_f64 v[52:53], v[8:9], v[52:53]
	v_fma_f64 v[18:19], v[18:19], 2.0, -v[54:55]
	v_fma_f64 v[22:23], v[22:23], 2.0, -v[35:36]
	v_fma_f64 v[8:9], v[8:9], v[50:51], -v[96:97]
	v_fma_f64 v[48:49], v[90:91], v[50:51], v[52:53]
	s_waitcnt vmcnt(3)
	v_mul_f64 v[50:51], v[92:93], v[72:73]
	v_mul_f64 v[52:53], v[10:11], v[72:73]
	ds_read_b64 v[90:91], v41
	ds_read_b64 v[94:95], v40
	;; [unrolled: 1-line block ×3, first 2 shown]
	v_add_f64 v[8:9], v[20:21], -v[8:9]
	v_fma_f64 v[10:11], v[10:11], v[70:71], -v[50:51]
	v_fma_f64 v[52:53], v[92:93], v[70:71], v[52:53]
	s_waitcnt vmcnt(2) lgkmcnt(4)
	v_mul_f64 v[72:73], v[29:30], v[76:77]
	s_waitcnt vmcnt(1)
	v_mul_f64 v[86:87], v[31:32], v[80:81]
	v_mul_f64 v[76:77], v[4:5], v[76:77]
	;; [unrolled: 1-line block ×3, first 2 shown]
	v_lshlrev_b32_sdwa v70, v3, v100 dst_sel:DWORD dst_unused:UNUSED_PAD src0_sel:DWORD src1_sel:BYTE_0
	v_add3_u32 v37, v37, v70, v26
	v_add_f64 v[10:11], v[16:17], -v[10:11]
	v_fma_f64 v[4:5], v[4:5], v[74:75], -v[72:73]
	v_fma_f64 v[6:7], v[6:7], v[78:79], -v[86:87]
	s_waitcnt vmcnt(0) lgkmcnt(3)
	v_mul_f64 v[98:99], v[88:89], v[84:85]
	v_mul_f64 v[50:51], v[24:25], v[84:85]
	v_fma_f64 v[29:30], v[29:30], v[74:75], v[76:77]
	ds_read_b64 v[70:71], v42
	ds_read_b64 v[72:73], v43
	;; [unrolled: 1-line block ×4, first 2 shown]
	s_waitcnt lgkmcnt(0)
	; wave barrier
	s_waitcnt lgkmcnt(0)
	ds_write2_b64 v37, v[18:19], v[54:55] offset1:7
	v_fma_f64 v[18:19], v[20:21], 2.0, -v[8:9]
	v_fma_f64 v[24:25], v[24:25], v[82:83], -v[98:99]
	v_add_f64 v[4:5], v[14:15], -v[4:5]
	v_mad_u32_u24 v54, v101, s4, 0
	v_lshlrev_b32_sdwa v20, v3, v102 dst_sel:DWORD dst_unused:UNUSED_PAD src0_sel:DWORD src1_sel:BYTE_0
	v_fma_f64 v[31:32], v[31:32], v[78:79], v[80:81]
	v_add3_u32 v78, v54, v20, v26
	v_mad_u32_u24 v20, v103, s4, 0
	v_lshlrev_b32_sdwa v21, v3, v104 dst_sel:DWORD dst_unused:UNUSED_PAD src0_sel:DWORD src1_sel:BYTE_0
	v_add_f64 v[6:7], v[0:1], -v[6:7]
	v_add3_u32 v79, v20, v21, v26
	ds_write2_b64 v78, v[22:23], v[35:36] offset1:7
	ds_write2_b64 v79, v[18:19], v[8:9] offset1:7
	v_fma_f64 v[8:9], v[16:17], 2.0, -v[10:11]
	v_add_f64 v[16:17], v[12:13], -v[24:25]
	v_fma_f64 v[14:15], v[14:15], 2.0, -v[4:5]
	v_mad_u32_u24 v18, v105, s4, 0
	v_lshlrev_b32_sdwa v19, v3, v106 dst_sel:DWORD dst_unused:UNUSED_PAD src0_sel:DWORD src1_sel:BYTE_0
	v_fma_f64 v[0:1], v[0:1], 2.0, -v[6:7]
	v_add3_u32 v25, v18, v19, v26
	v_fma_f64 v[50:51], v[88:89], v[82:83], v[50:51]
	ds_write2_b64 v25, v[8:9], v[10:11] offset1:7
	v_fma_f64 v[10:11], v[12:13], 2.0, -v[16:17]
	v_mad_u32_u24 v12, v107, s4, 0
	v_lshlrev_b32_sdwa v13, v3, v108 dst_sel:DWORD dst_unused:UNUSED_PAD src0_sel:DWORD src1_sel:BYTE_0
	v_add3_u32 v12, v12, v13, v26
	ds_write2_b64 v12, v[14:15], v[4:5] offset1:7
	v_mad_u32_u24 v4, v109, s4, 0
	v_lshlrev_b32_sdwa v5, v3, v110 dst_sel:DWORD dst_unused:UNUSED_PAD src0_sel:DWORD src1_sel:BYTE_0
	v_add3_u32 v80, v4, v5, v26
	v_add_f64 v[21:22], v[96:97], -v[33:34]
	ds_write2_b64 v80, v[0:1], v[6:7] offset1:7
	v_mad_u32_u24 v0, v111, s4, 0
	v_lshlrev_b32_sdwa v1, v3, v112 dst_sel:DWORD dst_unused:UNUSED_PAD src0_sel:DWORD src1_sel:BYTE_0
	v_add3_u32 v81, v0, v1, v26
	v_add_f64 v[0:1], v[94:95], -v[46:47]
	ds_write2_b64 v81, v[10:11], v[16:17] offset1:7
	v_add_f64 v[10:11], v[90:91], -v[48:49]
	v_add_f64 v[23:24], v[70:71], -v[52:53]
	;; [unrolled: 1-line block ×5, first 2 shown]
	v_fma_f64 v[8:9], v[96:97], 2.0, -v[21:22]
	v_fma_f64 v[35:36], v[94:95], 2.0, -v[0:1]
	s_waitcnt lgkmcnt(0)
	v_fma_f64 v[46:47], v[90:91], 2.0, -v[10:11]
	v_fma_f64 v[48:49], v[70:71], 2.0, -v[23:24]
	;; [unrolled: 1-line block ×5, first 2 shown]
	; wave barrier
	ds_read_b64 v[54:55], v38
	ds_read2_b64 v[4:7], v39 offset0:112 offset1:128
	ds_read_b64 v[86:87], v42
	ds_read_b64 v[88:89], v43
	;; [unrolled: 1-line block ×6, first 2 shown]
	ds_read_b64 v[102:103], v39 offset:1664
	ds_read2_b64 v[13:16], v39 offset0:144 offset1:160
	ds_read2_b64 v[17:20], v39 offset0:176 offset1:192
	s_waitcnt lgkmcnt(0)
	; wave barrier
	s_waitcnt lgkmcnt(0)
	ds_write2_b64 v37, v[8:9], v[21:22] offset1:7
	ds_write2_b64 v78, v[35:36], v[0:1] offset1:7
	;; [unrolled: 1-line block ×7, first 2 shown]
	v_add_u32_e32 v0, -14, v58
	v_mov_b32_e32 v1, 1
	v_cndmask_b32_e64 v11, v0, v58, s[0:1]
	v_mov_b32_e32 v12, 0
	v_lshrrev_b16_sdwa v10, v1, v68 dst_sel:DWORD dst_unused:UNUSED_PAD src0_sel:DWORD src1_sel:BYTE_0
	v_lshlrev_b64 v[8:9], 4, v[11:12]
	v_mul_lo_u16_e32 v10, 0x93, v10
	v_lshrrev_b16_e32 v25, 10, v10
	v_mov_b32_e32 v0, s13
	v_add_co_u32_e64 v8, s[0:1], s12, v8
	v_mul_lo_u16_e32 v10, 14, v25
	v_addc_co_u32_e64 v9, s[0:1], v0, v9, s[0:1]
	v_sub_u16_e32 v37, v68, v10
	s_waitcnt lgkmcnt(0)
	; wave barrier
	s_waitcnt lgkmcnt(0)
	v_lshlrev_b32_sdwa v10, v2, v37 dst_sel:DWORD dst_unused:UNUSED_PAD src0_sel:DWORD src1_sel:BYTE_0
	global_load_dwordx4 v[21:24], v[8:9], off offset:112
	global_load_dwordx4 v[29:32], v10, s[12:13] offset:112
	v_lshrrev_b16_sdwa v8, v1, v66 dst_sel:DWORD dst_unused:UNUSED_PAD src0_sel:DWORD src1_sel:BYTE_0
	v_mul_lo_u16_e32 v8, 0x93, v8
	v_lshrrev_b16_sdwa v9, v1, v62 dst_sel:DWORD dst_unused:UNUSED_PAD src0_sel:DWORD src1_sel:BYTE_0
	v_lshrrev_b16_e32 v106, 10, v8
	v_mul_lo_u16_e32 v9, 0x93, v9
	v_mul_lo_u16_e32 v8, 14, v106
	v_lshrrev_b16_e32 v108, 10, v9
	v_sub_u16_e32 v107, v66, v8
	v_mul_lo_u16_e32 v9, 14, v108
	v_lshlrev_b32_sdwa v8, v2, v107 dst_sel:DWORD dst_unused:UNUSED_PAD src0_sel:DWORD src1_sel:BYTE_0
	v_sub_u16_e32 v109, v62, v9
	v_lshlrev_b32_sdwa v9, v2, v109 dst_sel:DWORD dst_unused:UNUSED_PAD src0_sel:DWORD src1_sel:BYTE_0
	global_load_dwordx4 v[33:36], v8, s[12:13] offset:112
	global_load_dwordx4 v[46:49], v9, s[12:13] offset:112
	v_lshrrev_b16_sdwa v8, v1, v63 dst_sel:DWORD dst_unused:UNUSED_PAD src0_sel:DWORD src1_sel:BYTE_0
	v_mul_lo_u16_e32 v8, 0x93, v8
	v_lshrrev_b16_sdwa v9, v1, v64 dst_sel:DWORD dst_unused:UNUSED_PAD src0_sel:DWORD src1_sel:BYTE_0
	v_lshrrev_b16_e32 v110, 10, v8
	v_mul_lo_u16_e32 v9, 0x93, v9
	v_mul_lo_u16_e32 v8, 14, v110
	v_lshrrev_b16_e32 v112, 10, v9
	v_lshrrev_b16_sdwa v1, v1, v65 dst_sel:DWORD dst_unused:UNUSED_PAD src0_sel:DWORD src1_sel:BYTE_0
	v_sub_u16_e32 v111, v63, v8
	v_mul_lo_u16_e32 v9, 14, v112
	v_mul_lo_u16_e32 v1, 0x93, v1
	v_lshlrev_b32_sdwa v8, v2, v111 dst_sel:DWORD dst_unused:UNUSED_PAD src0_sel:DWORD src1_sel:BYTE_0
	v_sub_u16_e32 v113, v64, v9
	v_lshrrev_b16_e32 v1, 10, v1
	v_lshlrev_b32_sdwa v9, v2, v113 dst_sel:DWORD dst_unused:UNUSED_PAD src0_sel:DWORD src1_sel:BYTE_0
	global_load_dwordx4 v[50:53], v8, s[12:13] offset:112
	global_load_dwordx4 v[70:73], v9, s[12:13] offset:112
	v_mul_lo_u16_e32 v8, 14, v1
	v_sub_u16_e32 v114, v65, v8
	v_lshlrev_b32_sdwa v8, v2, v114 dst_sel:DWORD dst_unused:UNUSED_PAD src0_sel:DWORD src1_sel:BYTE_0
	global_load_dwordx4 v[74:77], v8, s[12:13] offset:112
	ds_read2_b64 v[78:81], v39 offset0:112 offset1:128
	ds_read2_b64 v[82:85], v39 offset0:144 offset1:160
	v_mov_b32_e32 v10, 0xe0
	v_cmp_lt_u32_e64 s[0:1], 13, v58
	v_cndmask_b32_e64 v10, 0, v10, s[0:1]
	v_add_u32_e32 v10, 0, v10
	v_lshlrev_b32_e32 v11, 3, v11
	v_mad_u32_u24 v25, v25, s5, 0
	v_lshlrev_b32_sdwa v37, v3, v37 dst_sel:DWORD dst_unused:UNUSED_PAD src0_sel:DWORD src1_sel:BYTE_0
	v_add3_u32 v25, v25, v37, v26
	v_mad_u32_u24 v1, v1, s5, 0
	s_waitcnt vmcnt(6) lgkmcnt(1)
	v_mul_f64 v[8:9], v[78:79], v[23:24]
	v_mul_f64 v[23:24], v[4:5], v[23:24]
	s_waitcnt vmcnt(5)
	v_mul_f64 v[90:91], v[80:81], v[31:32]
	v_mul_f64 v[31:32], v[6:7], v[31:32]
	v_fma_f64 v[8:9], v[4:5], v[21:22], -v[8:9]
	v_fma_f64 v[21:22], v[78:79], v[21:22], v[23:24]
	v_fma_f64 v[23:24], v[6:7], v[29:30], -v[90:91]
	v_fma_f64 v[29:30], v[80:81], v[29:30], v[31:32]
	ds_read2_b64 v[4:7], v39 offset0:176 offset1:192
	s_waitcnt vmcnt(4) lgkmcnt(1)
	v_mul_f64 v[94:95], v[82:83], v[35:36]
	v_mul_f64 v[35:36], v[13:14], v[35:36]
	ds_read_b64 v[80:81], v39 offset:1664
	v_add_f64 v[8:9], v[54:55], -v[8:9]
	v_add_f64 v[23:24], v[100:101], -v[23:24]
	v_fma_f64 v[13:14], v[13:14], v[33:34], -v[94:95]
	v_fma_f64 v[31:32], v[82:83], v[33:34], v[35:36]
	s_waitcnt vmcnt(3)
	v_mul_f64 v[33:34], v[84:85], v[48:49]
	v_mul_f64 v[35:36], v[15:16], v[48:49]
	ds_read_b64 v[82:83], v41
	ds_read_b64 v[90:91], v40
	;; [unrolled: 1-line block ×3, first 2 shown]
	s_waitcnt vmcnt(2) lgkmcnt(4)
	v_mul_f64 v[48:49], v[4:5], v[52:53]
	v_mul_f64 v[52:53], v[17:18], v[52:53]
	s_waitcnt vmcnt(1)
	v_mul_f64 v[78:79], v[6:7], v[72:73]
	v_mul_f64 v[72:73], v[19:20], v[72:73]
	v_fma_f64 v[15:16], v[15:16], v[46:47], -v[33:34]
	s_waitcnt vmcnt(0) lgkmcnt(3)
	v_mul_f64 v[104:105], v[80:81], v[76:77]
	v_mul_f64 v[33:34], v[102:103], v[76:77]
	v_fma_f64 v[35:36], v[84:85], v[46:47], v[35:36]
	v_add_f64 v[13:14], v[98:99], -v[13:14]
	v_fma_f64 v[46:47], v[4:5], v[50:51], v[52:53]
	v_fma_f64 v[4:5], v[19:20], v[70:71], -v[78:79]
	v_fma_f64 v[19:20], v[6:7], v[70:71], v[72:73]
	v_fma_f64 v[17:18], v[17:18], v[50:51], -v[48:49]
	v_fma_f64 v[6:7], v[102:103], v[74:75], -v[104:105]
	v_fma_f64 v[33:34], v[80:81], v[74:75], v[33:34]
	v_add3_u32 v74, v10, v11, v26
	v_fma_f64 v[10:11], v[54:55], 2.0, -v[8:9]
	ds_read_b64 v[48:49], v42
	ds_read_b64 v[50:51], v43
	ds_read_b64 v[52:53], v44
	ds_read_b64 v[54:55], v45
	s_waitcnt lgkmcnt(0)
	; wave barrier
	s_waitcnt lgkmcnt(0)
	v_fma_f64 v[70:71], v[100:101], 2.0, -v[23:24]
	v_add_f64 v[4:5], v[92:93], -v[4:5]
	v_add_f64 v[6:7], v[96:97], -v[6:7]
	v_add_f64 v[33:34], v[54:55], -v[33:34]
	ds_write2_b64 v74, v[10:11], v[8:9] offset1:14
	v_fma_f64 v[8:9], v[98:99], 2.0, -v[13:14]
	v_add_f64 v[10:11], v[86:87], -v[15:16]
	v_mad_u32_u24 v15, v106, s5, 0
	v_lshlrev_b32_sdwa v16, v3, v107 dst_sel:DWORD dst_unused:UNUSED_PAD src0_sel:DWORD src1_sel:BYTE_0
	v_add3_u32 v37, v15, v16, v26
	ds_write2_b64 v25, v[70:71], v[23:24] offset1:14
	v_mad_u32_u24 v15, v108, s5, 0
	v_lshlrev_b32_sdwa v16, v3, v109 dst_sel:DWORD dst_unused:UNUSED_PAD src0_sel:DWORD src1_sel:BYTE_0
	ds_write2_b64 v37, v[8:9], v[13:14] offset1:14
	v_add_f64 v[8:9], v[88:89], -v[17:18]
	v_fma_f64 v[13:14], v[86:87], 2.0, -v[10:11]
	v_add3_u32 v75, v15, v16, v26
	v_add_f64 v[23:24], v[94:95], -v[21:22]
	v_mad_u32_u24 v21, v110, s5, 0
	v_lshlrev_b32_sdwa v22, v3, v111 dst_sel:DWORD dst_unused:UNUSED_PAD src0_sel:DWORD src1_sel:BYTE_0
	v_add3_u32 v76, v21, v22, v26
	v_fma_f64 v[17:18], v[96:97], 2.0, -v[6:7]
	v_fma_f64 v[15:16], v[88:89], 2.0, -v[8:9]
	ds_write2_b64 v75, v[13:14], v[10:11] offset1:14
	v_fma_f64 v[13:14], v[92:93], 2.0, -v[4:5]
	v_fma_f64 v[10:11], v[94:95], 2.0, -v[23:24]
	;; [unrolled: 1-line block ×3, first 2 shown]
	ds_write2_b64 v76, v[15:16], v[8:9] offset1:14
	v_mad_u32_u24 v8, v112, s5, 0
	v_lshlrev_b32_sdwa v9, v3, v113 dst_sel:DWORD dst_unused:UNUSED_PAD src0_sel:DWORD src1_sel:BYTE_0
	v_add3_u32 v77, v8, v9, v26
	ds_write2_b64 v77, v[13:14], v[4:5] offset1:14
	v_add_f64 v[13:14], v[90:91], -v[29:30]
	v_add_f64 v[29:30], v[82:83], -v[31:32]
	;; [unrolled: 1-line block ×5, first 2 shown]
	v_lshlrev_b32_sdwa v4, v3, v114 dst_sel:DWORD dst_unused:UNUSED_PAD src0_sel:DWORD src1_sel:BYTE_0
	v_add3_u32 v1, v1, v4, v26
	ds_write2_b64 v1, v[17:18], v[6:7] offset1:14
	v_fma_f64 v[70:71], v[90:91], 2.0, -v[13:14]
	v_fma_f64 v[72:73], v[82:83], 2.0, -v[29:30]
	;; [unrolled: 1-line block ×5, first 2 shown]
	s_waitcnt lgkmcnt(0)
	; wave barrier
	s_waitcnt lgkmcnt(0)
	ds_read_b64 v[8:9], v38
	ds_read_b64 v[92:93], v42
	;; [unrolled: 1-line block ×7, first 2 shown]
	ds_read_b64 v[104:105], v39 offset:1664
	ds_read2_b64 v[4:7], v39 offset0:112 offset1:128
	ds_read2_b64 v[15:18], v39 offset0:144 offset1:160
	;; [unrolled: 1-line block ×3, first 2 shown]
	s_waitcnt lgkmcnt(0)
	; wave barrier
	s_waitcnt lgkmcnt(0)
	ds_write2_b64 v74, v[10:11], v[23:24] offset1:14
	ds_write2_b64 v25, v[70:71], v[13:14] offset1:14
	ds_write2_b64 v37, v[72:73], v[29:30] offset1:14
	ds_write2_b64 v75, v[48:49], v[31:32] offset1:14
	ds_write2_b64 v76, v[50:51], v[35:36] offset1:14
	ds_write2_b64 v77, v[52:53], v[46:47] offset1:14
	ds_write2_b64 v1, v[54:55], v[33:34] offset1:14
	v_lshlrev_b64 v[10:11], 4, v[58:59]
	s_waitcnt lgkmcnt(0)
	v_add_co_u32_e64 v13, s[0:1], s12, v10
	v_addc_co_u32_e64 v14, s[0:1], v0, v11, s[0:1]
	; wave barrier
	global_load_dwordx4 v[29:32], v[13:14], off offset:336
	global_load_dwordx4 v[33:36], v[13:14], off offset:400
	v_add_u32_e32 v1, -12, v58
	v_cmp_gt_u32_e64 s[0:1], 28, v68
	v_cndmask_b32_e64 v11, v1, v68, s[0:1]
	v_mov_b32_e32 v1, 2
	v_lshrrev_b16_sdwa v10, v1, v62 dst_sel:DWORD dst_unused:UNUSED_PAD src0_sel:DWORD src1_sel:BYTE_0
	v_lshlrev_b64 v[23:24], 4, v[11:12]
	v_mul_lo_u16_e32 v10, 37, v10
	v_lshrrev_b16_e32 v25, 8, v10
	v_add_co_u32_e64 v23, s[0:1], s12, v23
	v_mul_lo_u16_e32 v10, 28, v25
	v_addc_co_u32_e64 v24, s[0:1], v0, v24, s[0:1]
	v_sub_u16_e32 v37, v62, v10
	v_lshlrev_b32_sdwa v10, v2, v37 dst_sel:DWORD dst_unused:UNUSED_PAD src0_sel:DWORD src1_sel:BYTE_0
	global_load_dwordx4 v[46:49], v[23:24], off offset:336
	global_load_dwordx4 v[50:53], v10, s[12:13] offset:336
	v_lshrrev_b16_sdwa v10, v1, v63 dst_sel:DWORD dst_unused:UNUSED_PAD src0_sel:DWORD src1_sel:BYTE_0
	v_lshrrev_b16_sdwa v24, v1, v64 dst_sel:DWORD dst_unused:UNUSED_PAD src0_sel:DWORD src1_sel:BYTE_0
	;; [unrolled: 1-line block ×3, first 2 shown]
	v_mul_lo_u16_e32 v10, 37, v10
	v_mov_b32_e32 v23, 28
	v_mul_lo_u16_e32 v1, 37, v1
	v_mul_lo_u16_sdwa v10, v10, v23 dst_sel:DWORD dst_unused:UNUSED_PAD src0_sel:BYTE_1 src1_sel:DWORD
	v_mul_lo_u16_e32 v24, 37, v24
	v_mul_lo_u16_sdwa v1, v1, v23 dst_sel:DWORD dst_unused:UNUSED_PAD src0_sel:BYTE_1 src1_sel:DWORD
	v_sub_u16_e32 v10, v63, v10
	v_lshrrev_b16_e32 v106, 8, v24
	v_sub_u16_e32 v1, v65, v1
	v_and_b32_e32 v59, 0xff, v10
	v_mul_lo_u16_e32 v24, 28, v106
	v_and_b32_e32 v108, 0xff, v1
	v_lshlrev_b32_e32 v10, 4, v59
	v_sub_u16_e32 v107, v64, v24
	v_lshlrev_b32_e32 v1, 4, v108
	v_lshlrev_b32_sdwa v2, v2, v107 dst_sel:DWORD dst_unused:UNUSED_PAD src0_sel:DWORD src1_sel:BYTE_0
	global_load_dwordx4 v[70:73], v10, s[12:13] offset:336
	global_load_dwordx4 v[74:77], v2, s[12:13] offset:336
	;; [unrolled: 1-line block ×3, first 2 shown]
	ds_read2_b64 v[82:85], v39 offset0:112 offset1:128
	ds_read2_b64 v[86:89], v39 offset0:144 offset1:160
	v_cmp_lt_u32_e64 s[0:1], 27, v68
	v_lshlrev_b32_e32 v11, 3, v11
	s_waitcnt vmcnt(6) lgkmcnt(1)
	v_mul_f64 v[1:2], v[82:83], v[31:32]
	v_mul_f64 v[23:24], v[4:5], v[31:32]
	s_waitcnt vmcnt(5) lgkmcnt(0)
	v_mul_f64 v[54:55], v[86:87], v[35:36]
	v_mul_f64 v[35:36], v[15:16], v[35:36]
	v_fma_f64 v[1:2], v[4:5], v[29:30], -v[1:2]
	v_fma_f64 v[23:24], v[82:83], v[29:30], v[23:24]
	v_fma_f64 v[15:16], v[15:16], v[33:34], -v[54:55]
	ds_read_b64 v[54:55], v39 offset:1664
	v_fma_f64 v[33:34], v[86:87], v[33:34], v[35:36]
	s_waitcnt vmcnt(4)
	v_mul_f64 v[31:32], v[84:85], v[48:49]
	v_mul_f64 v[48:49], v[6:7], v[48:49]
	s_waitcnt vmcnt(3)
	v_mul_f64 v[90:91], v[88:89], v[52:53]
	v_add_f64 v[1:2], v[8:9], -v[1:2]
	v_add_f64 v[15:16], v[100:101], -v[15:16]
	v_fma_f64 v[29:30], v[6:7], v[46:47], -v[31:32]
	ds_read2_b64 v[4:7], v39 offset0:176 offset1:192
	v_fma_f64 v[31:32], v[84:85], v[46:47], v[48:49]
	v_fma_f64 v[35:36], v[17:18], v[50:51], -v[90:91]
	v_mul_f64 v[17:18], v[17:18], v[52:53]
	v_fma_f64 v[8:9], v[8:9], 2.0, -v[1:2]
	v_add_f64 v[29:30], v[102:103], -v[29:30]
	v_add_f64 v[35:36], v[92:93], -v[35:36]
	s_waitcnt vmcnt(2) lgkmcnt(0)
	v_mul_f64 v[46:47], v[4:5], v[72:73]
	v_mul_f64 v[48:49], v[19:20], v[72:73]
	s_waitcnt vmcnt(1)
	v_mul_f64 v[52:53], v[6:7], v[76:77]
	s_waitcnt vmcnt(0)
	v_mul_f64 v[86:87], v[54:55], v[80:81]
	v_mul_f64 v[80:81], v[104:105], v[80:81]
	;; [unrolled: 1-line block ×3, first 2 shown]
	ds_read_b64 v[76:77], v41
	ds_read_b64 v[82:83], v40
	;; [unrolled: 1-line block ×3, first 2 shown]
	v_fma_f64 v[17:18], v[88:89], v[50:51], v[17:18]
	v_fma_f64 v[19:20], v[19:20], v[70:71], -v[46:47]
	v_fma_f64 v[46:47], v[4:5], v[70:71], v[48:49]
	v_fma_f64 v[4:5], v[21:22], v[74:75], -v[52:53]
	v_fma_f64 v[48:49], v[54:55], v[78:79], v[80:81]
	ds_read_b64 v[50:51], v42
	ds_read_b64 v[52:53], v43
	;; [unrolled: 1-line block ×4, first 2 shown]
	s_waitcnt lgkmcnt(0)
	; wave barrier
	s_waitcnt lgkmcnt(0)
	ds_write2_b64 v39, v[8:9], v[1:2] offset1:28
	v_fma_f64 v[1:2], v[102:103], 2.0, -v[29:30]
	v_mov_b32_e32 v8, 0x1c0
	v_cndmask_b32_e64 v10, 0, v8, s[0:1]
	v_fma_f64 v[8:9], v[100:101], 2.0, -v[15:16]
	v_add_u32_e32 v10, 0, v10
	v_fma_f64 v[21:22], v[6:7], v[74:75], v[72:73]
	v_add3_u32 v72, v10, v11, v26
	v_add3_u32 v102, 0, v28, v26
	ds_write2_b64 v72, v[1:2], v[29:30] offset1:28
	v_add_f64 v[1:2], v[94:95], -v[19:20]
	v_add_f64 v[4:5], v[96:97], -v[4:5]
	ds_write2_b64 v102, v[8:9], v[15:16] offset0:60 offset1:88
	v_fma_f64 v[8:9], v[92:93], 2.0, -v[35:36]
	s_movk_i32 s0, 0x1c0
	v_fma_f64 v[6:7], v[104:105], v[78:79], -v[86:87]
	v_mad_u32_u24 v19, v25, s0, 0
	v_lshlrev_b32_sdwa v20, v3, v37 dst_sel:DWORD dst_unused:UNUSED_PAD src0_sel:DWORD src1_sel:BYTE_0
	v_fma_f64 v[15:16], v[94:95], 2.0, -v[1:2]
	v_add3_u32 v25, v19, v20, v26
	v_lshl_add_u32 v37, v59, 3, v27
	ds_write2_b64 v25, v[8:9], v[35:36] offset1:28
	v_fma_f64 v[8:9], v[96:97], 2.0, -v[4:5]
	v_add_f64 v[10:11], v[84:85], -v[23:24]
	v_add_f64 v[6:7], v[98:99], -v[6:7]
	;; [unrolled: 1-line block ×3, first 2 shown]
	ds_write2_b64 v37, v[15:16], v[1:2] offset0:112 offset1:140
	v_mad_u32_u24 v1, v106, s0, 0
	v_lshlrev_b32_sdwa v2, v3, v107 dst_sel:DWORD dst_unused:UNUSED_PAD src0_sel:DWORD src1_sel:BYTE_0
	v_add3_u32 v59, v1, v2, v26
	v_add_f64 v[15:16], v[82:83], -v[31:32]
	ds_write2_b64 v59, v[8:9], v[4:5] offset1:28
	v_lshl_add_u32 v9, v108, 3, v27
	v_add_f64 v[27:28], v[76:77], -v[33:34]
	v_add_f64 v[29:30], v[52:53], -v[46:47]
	;; [unrolled: 1-line block ×4, first 2 shown]
	v_fma_f64 v[23:24], v[84:85], 2.0, -v[10:11]
	v_fma_f64 v[19:20], v[98:99], 2.0, -v[6:7]
	;; [unrolled: 1-line block ×8, first 2 shown]
	ds_write2_b64 v9, v[19:20], v[6:7] offset0:168 offset1:196
	s_waitcnt lgkmcnt(0)
	; wave barrier
	s_waitcnt lgkmcnt(0)
	ds_read_b64 v[35:36], v38
	ds_read2_b64 v[1:4], v39 offset0:112 offset1:128
	ds_read_b64 v[86:87], v42
	ds_read_b64 v[88:89], v43
	;; [unrolled: 1-line block ×6, first 2 shown]
	ds_read_b64 v[98:99], v39 offset:1664
	ds_read2_b64 v[5:8], v39 offset0:144 offset1:160
	ds_read2_b64 v[19:22], v39 offset0:176 offset1:192
	s_waitcnt lgkmcnt(0)
	; wave barrier
	s_waitcnt lgkmcnt(0)
	ds_write2_b64 v39, v[23:24], v[10:11] offset1:28
	ds_write2_b64 v72, v[46:47], v[15:16] offset1:28
	ds_write2_b64 v102, v[48:49], v[27:28] offset0:60 offset1:88
	ds_write2_b64 v25, v[50:51], v[17:18] offset1:28
	ds_write2_b64 v37, v[52:53], v[29:30] offset0:112 offset1:140
	ds_write2_b64 v59, v[54:55], v[31:32] offset1:28
	ds_write2_b64 v9, v[70:71], v[33:34] offset0:168 offset1:196
	v_lshlrev_b64 v[9:10], 4, v[68:69]
	s_waitcnt lgkmcnt(0)
	v_add_co_u32_e64 v15, s[0:1], s12, v9
	v_addc_co_u32_e64 v16, s[0:1], v0, v10, s[0:1]
	v_lshlrev_b64 v[9:10], 4, v[66:67]
	; wave barrier
	global_load_dwordx4 v[27:30], v[13:14], off offset:784
	v_add_co_u32_e64 v17, s[0:1], s12, v9
	v_addc_co_u32_e64 v18, s[0:1], v0, v10, s[0:1]
	global_load_dwordx4 v[31:34], v[15:16], off offset:784
	global_load_dwordx4 v[46:49], v[17:18], off offset:784
	v_add_u32_e32 v9, -8, v58
	v_cmp_gt_u32_e64 s[0:1], 56, v62
	v_cndmask_b32_e64 v11, v9, v62, s[0:1]
	v_lshlrev_b64 v[9:10], 4, v[11:12]
	v_add_co_u32_e64 v9, s[0:1], s12, v9
	v_addc_co_u32_e64 v10, s[0:1], v0, v10, s[0:1]
	global_load_dwordx4 v[50:53], v[9:10], off offset:784
	global_load_dwordx4 v[66:69], v[13:14], off offset:912
	;; [unrolled: 1-line block ×4, first 2 shown]
	ds_read2_b64 v[78:81], v39 offset0:112 offset1:128
	ds_read2_b64 v[82:85], v39 offset0:144 offset1:160
	v_cmp_lt_u32_e64 s[0:1], 55, v62
	s_waitcnt vmcnt(6) lgkmcnt(1)
	v_mul_f64 v[9:10], v[78:79], v[29:30]
	v_mul_f64 v[23:24], v[1:2], v[29:30]
	s_waitcnt vmcnt(5)
	v_mul_f64 v[29:30], v[80:81], v[33:34]
	s_waitcnt vmcnt(4) lgkmcnt(0)
	v_mul_f64 v[54:55], v[82:83], v[48:49]
	v_mul_f64 v[33:34], v[3:4], v[33:34]
	v_mul_f64 v[48:49], v[5:6], v[48:49]
	v_fma_f64 v[9:10], v[1:2], v[27:28], -v[9:10]
	v_fma_f64 v[23:24], v[78:79], v[27:28], v[23:24]
	s_waitcnt vmcnt(3)
	v_mul_f64 v[100:101], v[84:85], v[52:53]
	v_fma_f64 v[27:28], v[3:4], v[31:32], -v[29:30]
	ds_read2_b64 v[0:3], v39 offset0:176 offset1:192
	v_fma_f64 v[4:5], v[5:6], v[46:47], -v[54:55]
	ds_read_b64 v[54:55], v39 offset:1664
	v_fma_f64 v[29:30], v[80:81], v[31:32], v[33:34]
	v_fma_f64 v[31:32], v[82:83], v[46:47], v[48:49]
	s_waitcnt vmcnt(2) lgkmcnt(1)
	v_mul_f64 v[46:47], v[0:1], v[68:69]
	v_fma_f64 v[33:34], v[7:8], v[50:51], -v[100:101]
	v_mul_f64 v[6:7], v[7:8], v[52:53]
	v_mul_f64 v[48:49], v[19:20], v[68:69]
	s_waitcnt vmcnt(1)
	v_mul_f64 v[52:53], v[2:3], v[72:73]
	v_mul_f64 v[68:69], v[21:22], v[72:73]
	s_waitcnt vmcnt(0) lgkmcnt(0)
	v_mul_f64 v[82:83], v[54:55], v[76:77]
	v_add_f64 v[8:9], v[35:36], -v[9:10]
	ds_read_b64 v[72:73], v41
	ds_read_b64 v[78:79], v40
	;; [unrolled: 1-line block ×3, first 2 shown]
	v_add_f64 v[4:5], v[94:95], -v[4:5]
	v_fma_f64 v[50:51], v[84:85], v[50:51], v[6:7]
	v_fma_f64 v[6:7], v[19:20], v[66:67], -v[46:47]
	v_fma_f64 v[46:47], v[0:1], v[66:67], v[48:49]
	v_fma_f64 v[0:1], v[21:22], v[70:71], -v[52:53]
	;; [unrolled: 2-line block ×3, first 2 shown]
	v_add_f64 v[21:22], v[96:97], -v[27:28]
	v_mul_f64 v[76:77], v[98:99], v[76:77]
	v_fma_f64 v[19:20], v[35:36], 2.0, -v[8:9]
	s_waitcnt lgkmcnt(0)
	v_add_f64 v[70:71], v[80:81], -v[23:24]
	v_add_f64 v[23:24], v[86:87], -v[33:34]
	;; [unrolled: 1-line block ×5, first 2 shown]
	v_fma_f64 v[27:28], v[96:97], 2.0, -v[21:22]
	v_fma_f64 v[33:34], v[94:95], 2.0, -v[4:5]
	v_fma_f64 v[52:53], v[54:55], v[74:75], v[76:77]
	ds_read_b64 v[35:36], v42
	ds_read_b64 v[54:55], v43
	;; [unrolled: 1-line block ×4, first 2 shown]
	s_waitcnt lgkmcnt(0)
	; wave barrier
	s_waitcnt lgkmcnt(0)
	ds_write2_b64 v39, v[19:20], v[8:9] offset1:56
	v_fma_f64 v[8:9], v[86:87], 2.0, -v[23:24]
	v_fma_f64 v[19:20], v[88:89], 2.0, -v[6:7]
	;; [unrolled: 1-line block ×5, first 2 shown]
	ds_write2_b64 v40, v[27:28], v[21:22] offset1:56
	ds_write2_b64 v41, v[33:34], v[4:5] offset1:56
	v_mov_b32_e32 v4, 0x380
	v_cndmask_b32_e64 v4, 0, v4, s[0:1]
	v_add_u32_e32 v4, 0, v4
	v_lshlrev_b32_e32 v5, 3, v11
	v_add3_u32 v37, v4, v5, v26
	ds_write2_b64 v37, v[8:9], v[23:24] offset1:56
	ds_write2_b64 v102, v[19:20], v[76:77] offset0:120 offset1:136
	ds_write2_b64 v102, v[80:81], v[6:7] offset0:152 offset1:176
	;; [unrolled: 1-line block ×3, first 2 shown]
	v_add_f64 v[76:77], v[78:79], -v[29:30]
	v_add_f64 v[80:81], v[72:73], -v[31:32]
	;; [unrolled: 1-line block ×6, first 2 shown]
	s_waitcnt lgkmcnt(0)
	; wave barrier
	s_waitcnt lgkmcnt(0)
	ds_read_b64 v[21:22], v38
	ds_read2_b64 v[4:7], v39 offset0:112 offset1:128
	ds_read2_b64 v[0:3], v39 offset0:144 offset1:160
	ds_read_b64 v[19:20], v42
	ds_read_b64 v[23:24], v43
	ds_read_b64 v[25:26], v44
	ds_read_b64 v[27:28], v45
	ds_read_b64 v[29:30], v41
	ds_read_b64 v[31:32], v40
	ds_read_b64 v[33:34], v39 offset:1664
	ds_read2_b64 v[8:11], v39 offset0:176 offset1:192
	v_fma_f64 v[78:79], v[78:79], 2.0, -v[76:77]
	v_fma_f64 v[72:73], v[72:73], 2.0, -v[80:81]
	;; [unrolled: 1-line block ×6, first 2 shown]
	s_waitcnt lgkmcnt(0)
	; wave barrier
	s_waitcnt lgkmcnt(0)
	ds_write2_b64 v39, v[74:75], v[70:71] offset1:56
	ds_write2_b64 v40, v[78:79], v[76:77] offset1:56
	;; [unrolled: 1-line block ×4, first 2 shown]
	ds_write2_b64 v102, v[54:55], v[66:67] offset0:120 offset1:136
	ds_write2_b64 v102, v[68:69], v[46:47] offset0:152 offset1:176
	;; [unrolled: 1-line block ×3, first 2 shown]
	s_waitcnt lgkmcnt(0)
	; wave barrier
	s_waitcnt lgkmcnt(0)
	s_and_saveexec_b64 s[0:1], vcc
	s_cbranch_execz .LBB0_15
; %bb.14:
	v_mov_b32_e32 v66, v12
	v_lshlrev_b64 v[35:36], 4, v[65:66]
	v_mov_b32_e32 v37, s13
	v_add_co_u32_e32 v35, vcc, s12, v35
	v_addc_co_u32_e32 v36, vcc, v37, v36, vcc
	v_mov_b32_e32 v65, v12
	global_load_dwordx4 v[46:49], v[35:36], off offset:1680
	v_lshlrev_b64 v[35:36], 4, v[64:65]
	v_mov_b32_e32 v64, v12
	v_add_co_u32_e32 v35, vcc, s12, v35
	v_lshlrev_b64 v[50:51], 4, v[63:64]
	v_addc_co_u32_e32 v36, vcc, v37, v36, vcc
	v_add_co_u32_e32 v54, vcc, s12, v50
	v_addc_co_u32_e32 v55, vcc, v37, v51, vcc
	global_load_dwordx4 v[50:53], v[15:16], off offset:1680
	global_load_dwordx4 v[64:67], v[13:14], off offset:1680
	;; [unrolled: 1-line block ×4, first 2 shown]
	v_mov_b32_e32 v63, v12
	v_lshlrev_b64 v[13:14], 4, v[62:63]
	v_mul_lo_u32 v63, s2, v61
	v_add_co_u32_e32 v35, vcc, s12, v13
	v_addc_co_u32_e32 v36, vcc, v37, v14, vcc
	global_load_dwordx4 v[13:16], v[35:36], off offset:1680
	global_load_dwordx4 v[76:79], v[17:18], off offset:1680
	v_mad_u64_u32 v[17:18], s[0:1], s2, v60, 0
	v_lshrrev_b32_e32 v35, 4, v58
	s_mov_b32 s0, 0x24924925
	v_mul_lo_u32 v37, s3, v60
	v_mul_hi_u32 v35, v35, s0
	ds_read2_b64 v[59:62], v39 offset0:176 offset1:192
	ds_read_b64 v[54:55], v45
	ds_read_b64 v[84:85], v44
	;; [unrolled: 1-line block ×4, first 2 shown]
	ds_read2_b64 v[42:45], v39 offset0:144 offset1:160
	ds_read_b64 v[90:91], v41
	ds_read_b64 v[92:93], v40
	ds_read2_b64 v[80:83], v39 offset0:112 offset1:128
	v_add3_u32 v18, v18, v63, v37
	v_mul_lo_u32 v40, v35, s4
	ds_read_b64 v[35:36], v39 offset:1664
	ds_read_b64 v[94:95], v38
	v_lshlrev_b64 v[17:18], 4, v[17:18]
	v_sub_u32_e32 v106, v58, v40
	s_waitcnt vmcnt(6)
	v_mul_f64 v[96:97], v[33:34], v[48:49]
	s_waitcnt lgkmcnt(1)
	v_mul_f64 v[48:49], v[35:36], v[48:49]
	v_fma_f64 v[35:36], v[35:36], v[46:47], v[96:97]
	s_waitcnt vmcnt(5)
	v_mul_f64 v[37:38], v[6:7], v[52:53]
	v_mul_f64 v[39:40], v[82:83], v[52:53]
	s_waitcnt vmcnt(4)
	v_mul_f64 v[52:53], v[4:5], v[66:67]
	s_waitcnt vmcnt(2)
	v_mul_f64 v[100:101], v[8:9], v[74:75]
	v_mul_f64 v[74:75], v[59:60], v[74:75]
	;; [unrolled: 1-line block ×4, first 2 shown]
	v_fma_f64 v[33:34], v[33:34], v[46:47], -v[48:49]
	v_fma_f64 v[37:38], v[82:83], v[50:51], v[37:38]
	v_fma_f64 v[6:7], v[6:7], v[50:51], -v[39:40]
	s_waitcnt vmcnt(1)
	v_mul_f64 v[102:103], v[2:3], v[15:16]
	s_waitcnt vmcnt(0)
	v_mul_f64 v[104:105], v[0:1], v[78:79]
	v_mul_f64 v[15:16], v[44:45], v[15:16]
	v_fma_f64 v[8:9], v[8:9], v[72:73], -v[74:75]
	v_mul_f64 v[78:79], v[42:43], v[78:79]
	v_fma_f64 v[39:40], v[80:81], v[64:65], v[52:53]
	v_fma_f64 v[4:5], v[4:5], v[64:65], -v[66:67]
	v_fma_f64 v[46:47], v[61:62], v[68:69], v[98:99]
	v_fma_f64 v[48:49], v[59:60], v[72:73], v[100:101]
	;; [unrolled: 1-line block ×3, first 2 shown]
	v_fma_f64 v[50:51], v[2:3], v[13:14], -v[15:16]
	v_add_f64 v[15:16], v[54:55], -v[35:36]
	v_add_f64 v[2:3], v[92:93], -v[37:38]
	;; [unrolled: 1-line block ×3, first 2 shown]
	v_mul_f64 v[70:71], v[61:62], v[70:71]
	v_fma_f64 v[59:60], v[0:1], v[76:77], -v[78:79]
	v_add_f64 v[0:1], v[31:32], -v[6:7]
	s_waitcnt lgkmcnt(0)
	v_add_f64 v[6:7], v[94:95], -v[39:40]
	v_add_f64 v[4:5], v[21:22], -v[4:5]
	;; [unrolled: 1-line block ×5, first 2 shown]
	v_add_u32_e32 v53, 16, v58
	v_fma_f64 v[61:62], v[54:55], 2.0, -v[15:16]
	v_lshrrev_b32_e32 v54, 4, v53
	v_fma_f64 v[63:64], v[23:24], 2.0, -v[37:38]
	v_mov_b32_e32 v23, s11
	v_add_co_u32_e32 v24, vcc, s10, v17
	v_mul_hi_u32 v54, v54, s0
	v_fma_f64 v[10:11], v[10:11], v[68:69], -v[70:71]
	v_addc_co_u32_e32 v23, vcc, v23, v18, vcc
	v_lshlrev_b64 v[17:18], 4, v[56:57]
	v_add_f64 v[41:42], v[19:20], -v[50:51]
	v_add_co_u32_e32 v55, vcc, v24, v17
	v_addc_co_u32_e32 v56, vcc, v23, v18, vcc
	v_mul_lo_u32 v23, v54, s4
	v_fma_f64 v[51:52], v[94:95], 2.0, -v[6:7]
	v_fma_f64 v[49:50], v[21:22], 2.0, -v[4:5]
	v_fma_f64 v[44:45], v[44:45], v[13:14], v[102:103]
	v_sub_u32_e32 v23, v53, v23
	v_add_f64 v[13:14], v[27:28], -v[33:34]
	v_add_f64 v[33:34], v[25:26], -v[10:11]
	v_fma_f64 v[10:11], v[92:93], 2.0, -v[2:3]
	v_fma_f64 v[8:9], v[31:32], 2.0, -v[0:1]
	v_mad_u64_u32 v[23:24], s[2:3], v54, s5, v[23:24]
	v_lshlrev_b32_e32 v17, 4, v106
	v_add_co_u32_e32 v17, vcc, v55, v17
	v_addc_co_u32_e32 v18, vcc, 0, v56, vcc
	v_mov_b32_e32 v24, v12
	global_store_dwordx4 v[17:18], v[49:52], off
	global_store_dwordx4 v[17:18], v[4:7], off offset:1792
	v_add_f64 v[43:44], v[88:89], -v[44:45]
	v_lshlrev_b64 v[4:5], 4, v[23:24]
	v_add_u32_e32 v6, 32, v58
	v_lshrrev_b32_e32 v7, 4, v6
	v_add_co_u32_e32 v4, vcc, v55, v4
	v_mul_hi_u32 v7, v7, s0
	v_addc_co_u32_e32 v5, vcc, v56, v5, vcc
	v_add_f64 v[45:46], v[29:30], -v[59:60]
	global_store_dwordx4 v[4:5], v[8:11], off
	v_mul_lo_u32 v17, v7, s4
	v_add_u32_e32 v11, 0x70, v23
	v_lshlrev_b64 v[4:5], 4, v[11:12]
	v_fma_f64 v[31:32], v[90:91], 2.0, -v[47:48]
	v_add_co_u32_e32 v4, vcc, v55, v4
	v_addc_co_u32_e32 v5, vcc, v56, v5, vcc
	global_store_dwordx4 v[4:5], v[0:3], off
	v_sub_u32_e32 v6, v6, v17
	v_add_u32_e32 v2, 48, v58
	v_lshrrev_b32_e32 v3, 4, v2
	v_mul_hi_u32 v3, v3, s0
	v_fma_f64 v[29:30], v[29:30], 2.0, -v[45:46]
	v_mad_u64_u32 v[6:7], s[2:3], v7, s5, v[6:7]
	v_mov_b32_e32 v7, v12
	v_mul_lo_u32 v4, v3, s4
	v_lshlrev_b64 v[0:1], 4, v[6:7]
	v_add_u32_e32 v11, 0x70, v6
	v_add_co_u32_e32 v0, vcc, v55, v0
	v_addc_co_u32_e32 v1, vcc, v56, v1, vcc
	v_sub_u32_e32 v2, v2, v4
	global_store_dwordx4 v[0:1], v[29:32], off
	v_lshlrev_b64 v[0:1], 4, v[11:12]
	v_mad_u64_u32 v[2:3], s[2:3], v3, s5, v[2:3]
	v_add_co_u32_e32 v0, vcc, v55, v0
	v_addc_co_u32_e32 v1, vcc, v56, v1, vcc
	v_mov_b32_e32 v3, v12
	global_store_dwordx4 v[0:1], v[45:48], off
	v_lshlrev_b64 v[0:1], 4, v[2:3]
	v_add_u32_e32 v3, 64, v58
	v_lshrrev_b32_e32 v4, 4, v3
	v_mul_hi_u32 v4, v4, s0
	v_fma_f64 v[21:22], v[88:89], 2.0, -v[43:44]
	v_fma_f64 v[19:20], v[19:20], 2.0, -v[41:42]
	v_add_co_u32_e32 v0, vcc, v55, v0
	v_mul_lo_u32 v5, v4, s4
	v_addc_co_u32_e32 v1, vcc, v56, v1, vcc
	v_add_u32_e32 v11, 0x70, v2
	v_sub_u32_e32 v2, v3, v5
	global_store_dwordx4 v[0:1], v[19:22], off
	v_lshlrev_b64 v[0:1], 4, v[11:12]
	v_mad_u64_u32 v[2:3], s[2:3], v4, s5, v[2:3]
	v_add_co_u32_e32 v0, vcc, v55, v0
	v_addc_co_u32_e32 v1, vcc, v56, v1, vcc
	v_mov_b32_e32 v3, v12
	global_store_dwordx4 v[0:1], v[41:44], off
	v_lshlrev_b64 v[0:1], 4, v[2:3]
	v_add_u32_e32 v3, 0x50, v58
	v_lshrrev_b32_e32 v4, 4, v3
	v_mul_hi_u32 v4, v4, s0
	v_fma_f64 v[65:66], v[86:87], 2.0, -v[39:40]
	v_add_co_u32_e32 v0, vcc, v55, v0
	v_mul_lo_u32 v5, v4, s4
	v_addc_co_u32_e32 v1, vcc, v56, v1, vcc
	v_add_u32_e32 v11, 0x70, v2
	v_sub_u32_e32 v2, v3, v5
	global_store_dwordx4 v[0:1], v[63:66], off
	v_lshlrev_b64 v[0:1], 4, v[11:12]
	v_mad_u64_u32 v[2:3], s[2:3], v4, s5, v[2:3]
	v_add_co_u32_e32 v0, vcc, v55, v0
	v_addc_co_u32_e32 v1, vcc, v56, v1, vcc
	v_mov_b32_e32 v3, v12
	global_store_dwordx4 v[0:1], v[37:40], off
	v_lshlrev_b64 v[0:1], 4, v[2:3]
	v_add_u32_e32 v3, 0x60, v58
	v_lshrrev_b32_e32 v4, 4, v3
	v_mul_hi_u32 v4, v4, s0
	v_fma_f64 v[59:60], v[27:28], 2.0, -v[13:14]
	v_fma_f64 v[27:28], v[84:85], 2.0, -v[35:36]
	;; [unrolled: 1-line block ×3, first 2 shown]
	v_mul_lo_u32 v5, v4, s4
	v_add_co_u32_e32 v0, vcc, v55, v0
	v_addc_co_u32_e32 v1, vcc, v56, v1, vcc
	v_add_u32_e32 v11, 0x70, v2
	v_sub_u32_e32 v2, v3, v5
	global_store_dwordx4 v[0:1], v[25:28], off
	v_lshlrev_b64 v[0:1], 4, v[11:12]
	v_mad_u64_u32 v[2:3], s[0:1], v4, s5, v[2:3]
	v_add_co_u32_e32 v0, vcc, v55, v0
	v_addc_co_u32_e32 v1, vcc, v56, v1, vcc
	v_mov_b32_e32 v3, v12
	global_store_dwordx4 v[0:1], v[33:36], off
	v_lshlrev_b64 v[0:1], 4, v[2:3]
	v_add_u32_e32 v11, 0x70, v2
	v_add_co_u32_e32 v0, vcc, v55, v0
	v_addc_co_u32_e32 v1, vcc, v56, v1, vcc
	global_store_dwordx4 v[0:1], v[59:62], off
	v_lshlrev_b64 v[0:1], 4, v[11:12]
	v_add_co_u32_e32 v0, vcc, v55, v0
	v_addc_co_u32_e32 v1, vcc, v56, v1, vcc
	global_store_dwordx4 v[0:1], v[13:16], off
.LBB0_15:
	s_endpgm
	.section	.rodata,"a",@progbits
	.p2align	6, 0x0
	.amdhsa_kernel fft_rtc_fwd_len224_factors_7_2_2_2_2_2_wgs_64_tpt_16_halfLds_dp_op_CI_CI_unitstride_sbrr_dirReg
		.amdhsa_group_segment_fixed_size 0
		.amdhsa_private_segment_fixed_size 0
		.amdhsa_kernarg_size 104
		.amdhsa_user_sgpr_count 6
		.amdhsa_user_sgpr_private_segment_buffer 1
		.amdhsa_user_sgpr_dispatch_ptr 0
		.amdhsa_user_sgpr_queue_ptr 0
		.amdhsa_user_sgpr_kernarg_segment_ptr 1
		.amdhsa_user_sgpr_dispatch_id 0
		.amdhsa_user_sgpr_flat_scratch_init 0
		.amdhsa_user_sgpr_private_segment_size 0
		.amdhsa_uses_dynamic_stack 0
		.amdhsa_system_sgpr_private_segment_wavefront_offset 0
		.amdhsa_system_sgpr_workgroup_id_x 1
		.amdhsa_system_sgpr_workgroup_id_y 0
		.amdhsa_system_sgpr_workgroup_id_z 0
		.amdhsa_system_sgpr_workgroup_info 0
		.amdhsa_system_vgpr_workitem_id 0
		.amdhsa_next_free_vgpr 115
		.amdhsa_next_free_sgpr 28
		.amdhsa_reserve_vcc 1
		.amdhsa_reserve_flat_scratch 0
		.amdhsa_float_round_mode_32 0
		.amdhsa_float_round_mode_16_64 0
		.amdhsa_float_denorm_mode_32 3
		.amdhsa_float_denorm_mode_16_64 3
		.amdhsa_dx10_clamp 1
		.amdhsa_ieee_mode 1
		.amdhsa_fp16_overflow 0
		.amdhsa_exception_fp_ieee_invalid_op 0
		.amdhsa_exception_fp_denorm_src 0
		.amdhsa_exception_fp_ieee_div_zero 0
		.amdhsa_exception_fp_ieee_overflow 0
		.amdhsa_exception_fp_ieee_underflow 0
		.amdhsa_exception_fp_ieee_inexact 0
		.amdhsa_exception_int_div_zero 0
	.end_amdhsa_kernel
	.text
.Lfunc_end0:
	.size	fft_rtc_fwd_len224_factors_7_2_2_2_2_2_wgs_64_tpt_16_halfLds_dp_op_CI_CI_unitstride_sbrr_dirReg, .Lfunc_end0-fft_rtc_fwd_len224_factors_7_2_2_2_2_2_wgs_64_tpt_16_halfLds_dp_op_CI_CI_unitstride_sbrr_dirReg
                                        ; -- End function
	.section	.AMDGPU.csdata,"",@progbits
; Kernel info:
; codeLenInByte = 9588
; NumSgprs: 32
; NumVgprs: 115
; ScratchSize: 0
; MemoryBound: 1
; FloatMode: 240
; IeeeMode: 1
; LDSByteSize: 0 bytes/workgroup (compile time only)
; SGPRBlocks: 3
; VGPRBlocks: 28
; NumSGPRsForWavesPerEU: 32
; NumVGPRsForWavesPerEU: 115
; Occupancy: 2
; WaveLimiterHint : 1
; COMPUTE_PGM_RSRC2:SCRATCH_EN: 0
; COMPUTE_PGM_RSRC2:USER_SGPR: 6
; COMPUTE_PGM_RSRC2:TRAP_HANDLER: 0
; COMPUTE_PGM_RSRC2:TGID_X_EN: 1
; COMPUTE_PGM_RSRC2:TGID_Y_EN: 0
; COMPUTE_PGM_RSRC2:TGID_Z_EN: 0
; COMPUTE_PGM_RSRC2:TIDIG_COMP_CNT: 0
	.type	__hip_cuid_d81930370b66b992,@object ; @__hip_cuid_d81930370b66b992
	.section	.bss,"aw",@nobits
	.globl	__hip_cuid_d81930370b66b992
__hip_cuid_d81930370b66b992:
	.byte	0                               ; 0x0
	.size	__hip_cuid_d81930370b66b992, 1

	.ident	"AMD clang version 19.0.0git (https://github.com/RadeonOpenCompute/llvm-project roc-6.4.0 25133 c7fe45cf4b819c5991fe208aaa96edf142730f1d)"
	.section	".note.GNU-stack","",@progbits
	.addrsig
	.addrsig_sym __hip_cuid_d81930370b66b992
	.amdgpu_metadata
---
amdhsa.kernels:
  - .args:
      - .actual_access:  read_only
        .address_space:  global
        .offset:         0
        .size:           8
        .value_kind:     global_buffer
      - .offset:         8
        .size:           8
        .value_kind:     by_value
      - .actual_access:  read_only
        .address_space:  global
        .offset:         16
        .size:           8
        .value_kind:     global_buffer
      - .actual_access:  read_only
        .address_space:  global
        .offset:         24
        .size:           8
        .value_kind:     global_buffer
      - .actual_access:  read_only
        .address_space:  global
        .offset:         32
        .size:           8
        .value_kind:     global_buffer
      - .offset:         40
        .size:           8
        .value_kind:     by_value
      - .actual_access:  read_only
        .address_space:  global
        .offset:         48
        .size:           8
        .value_kind:     global_buffer
      - .actual_access:  read_only
        .address_space:  global
        .offset:         56
        .size:           8
        .value_kind:     global_buffer
      - .offset:         64
        .size:           4
        .value_kind:     by_value
      - .actual_access:  read_only
        .address_space:  global
        .offset:         72
        .size:           8
        .value_kind:     global_buffer
      - .actual_access:  read_only
        .address_space:  global
        .offset:         80
        .size:           8
        .value_kind:     global_buffer
      - .actual_access:  read_only
        .address_space:  global
        .offset:         88
        .size:           8
        .value_kind:     global_buffer
      - .actual_access:  write_only
        .address_space:  global
        .offset:         96
        .size:           8
        .value_kind:     global_buffer
    .group_segment_fixed_size: 0
    .kernarg_segment_align: 8
    .kernarg_segment_size: 104
    .language:       OpenCL C
    .language_version:
      - 2
      - 0
    .max_flat_workgroup_size: 64
    .name:           fft_rtc_fwd_len224_factors_7_2_2_2_2_2_wgs_64_tpt_16_halfLds_dp_op_CI_CI_unitstride_sbrr_dirReg
    .private_segment_fixed_size: 0
    .sgpr_count:     32
    .sgpr_spill_count: 0
    .symbol:         fft_rtc_fwd_len224_factors_7_2_2_2_2_2_wgs_64_tpt_16_halfLds_dp_op_CI_CI_unitstride_sbrr_dirReg.kd
    .uniform_work_group_size: 1
    .uses_dynamic_stack: false
    .vgpr_count:     115
    .vgpr_spill_count: 0
    .wavefront_size: 64
amdhsa.target:   amdgcn-amd-amdhsa--gfx906
amdhsa.version:
  - 1
  - 2
...

	.end_amdgpu_metadata
